;; amdgpu-corpus repo=ROCm/rocFFT kind=compiled arch=gfx906 opt=O3
	.text
	.amdgcn_target "amdgcn-amd-amdhsa--gfx906"
	.amdhsa_code_object_version 6
	.protected	fft_rtc_fwd_len756_factors_2_2_3_3_3_7_wgs_63_tpt_63_dp_ip_CI_sbrr_dirReg ; -- Begin function fft_rtc_fwd_len756_factors_2_2_3_3_3_7_wgs_63_tpt_63_dp_ip_CI_sbrr_dirReg
	.globl	fft_rtc_fwd_len756_factors_2_2_3_3_3_7_wgs_63_tpt_63_dp_ip_CI_sbrr_dirReg
	.p2align	8
	.type	fft_rtc_fwd_len756_factors_2_2_3_3_3_7_wgs_63_tpt_63_dp_ip_CI_sbrr_dirReg,@function
fft_rtc_fwd_len756_factors_2_2_3_3_3_7_wgs_63_tpt_63_dp_ip_CI_sbrr_dirReg: ; @fft_rtc_fwd_len756_factors_2_2_3_3_3_7_wgs_63_tpt_63_dp_ip_CI_sbrr_dirReg
; %bb.0:
	s_load_dwordx2 s[14:15], s[4:5], 0x18
	s_load_dwordx4 s[8:11], s[4:5], 0x0
	s_load_dwordx2 s[12:13], s[4:5], 0x50
	v_mul_u32_u24_e32 v1, 0x411, v0
	v_add_u32_sdwa v5, s6, v1 dst_sel:DWORD dst_unused:UNUSED_PAD src0_sel:DWORD src1_sel:WORD_1
	s_waitcnt lgkmcnt(0)
	s_load_dwordx2 s[2:3], s[14:15], 0x0
	v_cmp_lt_u64_e64 s[0:1], s[10:11], 2
	v_mov_b32_e32 v3, 0
	v_mov_b32_e32 v1, 0
	;; [unrolled: 1-line block ×3, first 2 shown]
	s_and_b64 vcc, exec, s[0:1]
	v_mov_b32_e32 v2, 0
	s_cbranch_vccnz .LBB0_8
; %bb.1:
	s_load_dwordx2 s[0:1], s[4:5], 0x10
	s_add_u32 s6, s14, 8
	s_addc_u32 s7, s15, 0
	v_mov_b32_e32 v1, 0
	v_mov_b32_e32 v2, 0
	s_waitcnt lgkmcnt(0)
	s_add_u32 s16, s0, 8
	s_addc_u32 s17, s1, 0
	s_mov_b64 s[18:19], 1
.LBB0_2:                                ; =>This Inner Loop Header: Depth=1
	s_load_dwordx2 s[20:21], s[16:17], 0x0
                                        ; implicit-def: $vgpr7_vgpr8
	s_waitcnt lgkmcnt(0)
	v_or_b32_e32 v4, s21, v6
	v_cmp_ne_u64_e32 vcc, 0, v[3:4]
	s_and_saveexec_b64 s[0:1], vcc
	s_xor_b64 s[22:23], exec, s[0:1]
	s_cbranch_execz .LBB0_4
; %bb.3:                                ;   in Loop: Header=BB0_2 Depth=1
	v_cvt_f32_u32_e32 v4, s20
	v_cvt_f32_u32_e32 v7, s21
	s_sub_u32 s0, 0, s20
	s_subb_u32 s1, 0, s21
	v_mac_f32_e32 v4, 0x4f800000, v7
	v_rcp_f32_e32 v4, v4
	v_mul_f32_e32 v4, 0x5f7ffffc, v4
	v_mul_f32_e32 v7, 0x2f800000, v4
	v_trunc_f32_e32 v7, v7
	v_mac_f32_e32 v4, 0xcf800000, v7
	v_cvt_u32_f32_e32 v7, v7
	v_cvt_u32_f32_e32 v4, v4
	v_mul_lo_u32 v8, s0, v7
	v_mul_hi_u32 v9, s0, v4
	v_mul_lo_u32 v11, s1, v4
	v_mul_lo_u32 v10, s0, v4
	v_add_u32_e32 v8, v9, v8
	v_add_u32_e32 v8, v8, v11
	v_mul_hi_u32 v9, v4, v10
	v_mul_lo_u32 v11, v4, v8
	v_mul_hi_u32 v13, v4, v8
	v_mul_hi_u32 v12, v7, v10
	v_mul_lo_u32 v10, v7, v10
	v_mul_hi_u32 v14, v7, v8
	v_add_co_u32_e32 v9, vcc, v9, v11
	v_addc_co_u32_e32 v11, vcc, 0, v13, vcc
	v_mul_lo_u32 v8, v7, v8
	v_add_co_u32_e32 v9, vcc, v9, v10
	v_addc_co_u32_e32 v9, vcc, v11, v12, vcc
	v_addc_co_u32_e32 v10, vcc, 0, v14, vcc
	v_add_co_u32_e32 v8, vcc, v9, v8
	v_addc_co_u32_e32 v9, vcc, 0, v10, vcc
	v_add_co_u32_e32 v4, vcc, v4, v8
	v_addc_co_u32_e32 v7, vcc, v7, v9, vcc
	v_mul_lo_u32 v8, s0, v7
	v_mul_hi_u32 v9, s0, v4
	v_mul_lo_u32 v10, s1, v4
	v_mul_lo_u32 v11, s0, v4
	v_add_u32_e32 v8, v9, v8
	v_add_u32_e32 v8, v8, v10
	v_mul_lo_u32 v12, v4, v8
	v_mul_hi_u32 v13, v4, v11
	v_mul_hi_u32 v14, v4, v8
	;; [unrolled: 1-line block ×3, first 2 shown]
	v_mul_lo_u32 v11, v7, v11
	v_mul_hi_u32 v9, v7, v8
	v_add_co_u32_e32 v12, vcc, v13, v12
	v_addc_co_u32_e32 v13, vcc, 0, v14, vcc
	v_mul_lo_u32 v8, v7, v8
	v_add_co_u32_e32 v11, vcc, v12, v11
	v_addc_co_u32_e32 v10, vcc, v13, v10, vcc
	v_addc_co_u32_e32 v9, vcc, 0, v9, vcc
	v_add_co_u32_e32 v8, vcc, v10, v8
	v_addc_co_u32_e32 v9, vcc, 0, v9, vcc
	v_add_co_u32_e32 v4, vcc, v4, v8
	v_addc_co_u32_e32 v9, vcc, v7, v9, vcc
	v_mad_u64_u32 v[7:8], s[0:1], v5, v9, 0
	v_mul_hi_u32 v10, v5, v4
	v_add_co_u32_e32 v11, vcc, v10, v7
	v_addc_co_u32_e32 v12, vcc, 0, v8, vcc
	v_mad_u64_u32 v[7:8], s[0:1], v6, v4, 0
	v_mad_u64_u32 v[9:10], s[0:1], v6, v9, 0
	v_add_co_u32_e32 v4, vcc, v11, v7
	v_addc_co_u32_e32 v4, vcc, v12, v8, vcc
	v_addc_co_u32_e32 v7, vcc, 0, v10, vcc
	v_add_co_u32_e32 v4, vcc, v4, v9
	v_addc_co_u32_e32 v9, vcc, 0, v7, vcc
	v_mul_lo_u32 v10, s21, v4
	v_mul_lo_u32 v11, s20, v9
	v_mad_u64_u32 v[7:8], s[0:1], s20, v4, 0
	v_add3_u32 v8, v8, v11, v10
	v_sub_u32_e32 v10, v6, v8
	v_mov_b32_e32 v11, s21
	v_sub_co_u32_e32 v7, vcc, v5, v7
	v_subb_co_u32_e64 v10, s[0:1], v10, v11, vcc
	v_subrev_co_u32_e64 v11, s[0:1], s20, v7
	v_subbrev_co_u32_e64 v10, s[0:1], 0, v10, s[0:1]
	v_cmp_le_u32_e64 s[0:1], s21, v10
	v_cndmask_b32_e64 v12, 0, -1, s[0:1]
	v_cmp_le_u32_e64 s[0:1], s20, v11
	v_cndmask_b32_e64 v11, 0, -1, s[0:1]
	v_cmp_eq_u32_e64 s[0:1], s21, v10
	v_cndmask_b32_e64 v10, v12, v11, s[0:1]
	v_add_co_u32_e64 v11, s[0:1], 2, v4
	v_addc_co_u32_e64 v12, s[0:1], 0, v9, s[0:1]
	v_add_co_u32_e64 v13, s[0:1], 1, v4
	v_addc_co_u32_e64 v14, s[0:1], 0, v9, s[0:1]
	v_subb_co_u32_e32 v8, vcc, v6, v8, vcc
	v_cmp_ne_u32_e64 s[0:1], 0, v10
	v_cmp_le_u32_e32 vcc, s21, v8
	v_cndmask_b32_e64 v10, v14, v12, s[0:1]
	v_cndmask_b32_e64 v12, 0, -1, vcc
	v_cmp_le_u32_e32 vcc, s20, v7
	v_cndmask_b32_e64 v7, 0, -1, vcc
	v_cmp_eq_u32_e32 vcc, s21, v8
	v_cndmask_b32_e32 v7, v12, v7, vcc
	v_cmp_ne_u32_e32 vcc, 0, v7
	v_cndmask_b32_e64 v7, v13, v11, s[0:1]
	v_cndmask_b32_e32 v8, v9, v10, vcc
	v_cndmask_b32_e32 v7, v4, v7, vcc
.LBB0_4:                                ;   in Loop: Header=BB0_2 Depth=1
	s_andn2_saveexec_b64 s[0:1], s[22:23]
	s_cbranch_execz .LBB0_6
; %bb.5:                                ;   in Loop: Header=BB0_2 Depth=1
	v_cvt_f32_u32_e32 v4, s20
	s_sub_i32 s22, 0, s20
	v_rcp_iflag_f32_e32 v4, v4
	v_mul_f32_e32 v4, 0x4f7ffffe, v4
	v_cvt_u32_f32_e32 v4, v4
	v_mul_lo_u32 v7, s22, v4
	v_mul_hi_u32 v7, v4, v7
	v_add_u32_e32 v4, v4, v7
	v_mul_hi_u32 v4, v5, v4
	v_mul_lo_u32 v7, v4, s20
	v_add_u32_e32 v8, 1, v4
	v_sub_u32_e32 v7, v5, v7
	v_subrev_u32_e32 v9, s20, v7
	v_cmp_le_u32_e32 vcc, s20, v7
	v_cndmask_b32_e32 v7, v7, v9, vcc
	v_cndmask_b32_e32 v4, v4, v8, vcc
	v_add_u32_e32 v8, 1, v4
	v_cmp_le_u32_e32 vcc, s20, v7
	v_cndmask_b32_e32 v7, v4, v8, vcc
	v_mov_b32_e32 v8, v3
.LBB0_6:                                ;   in Loop: Header=BB0_2 Depth=1
	s_or_b64 exec, exec, s[0:1]
	v_mul_lo_u32 v4, v8, s20
	v_mul_lo_u32 v11, v7, s21
	v_mad_u64_u32 v[9:10], s[0:1], v7, s20, 0
	s_load_dwordx2 s[0:1], s[6:7], 0x0
	s_add_u32 s18, s18, 1
	v_add3_u32 v4, v10, v11, v4
	v_sub_co_u32_e32 v5, vcc, v5, v9
	v_subb_co_u32_e32 v4, vcc, v6, v4, vcc
	s_waitcnt lgkmcnt(0)
	v_mul_lo_u32 v4, s0, v4
	v_mul_lo_u32 v6, s1, v5
	v_mad_u64_u32 v[1:2], s[0:1], s0, v5, v[1:2]
	s_addc_u32 s19, s19, 0
	s_add_u32 s6, s6, 8
	v_add3_u32 v2, v6, v2, v4
	v_mov_b32_e32 v4, s10
	v_mov_b32_e32 v5, s11
	s_addc_u32 s7, s7, 0
	v_cmp_ge_u64_e32 vcc, s[18:19], v[4:5]
	s_add_u32 s16, s16, 8
	s_addc_u32 s17, s17, 0
	s_cbranch_vccnz .LBB0_9
; %bb.7:                                ;   in Loop: Header=BB0_2 Depth=1
	v_mov_b32_e32 v5, v7
	v_mov_b32_e32 v6, v8
	s_branch .LBB0_2
.LBB0_8:
	v_mov_b32_e32 v8, v6
	v_mov_b32_e32 v7, v5
.LBB0_9:
	s_lshl_b64 s[0:1], s[10:11], 3
	s_add_u32 s0, s14, s0
	s_addc_u32 s1, s15, s1
	s_load_dwordx2 s[6:7], s[0:1], 0x0
	s_load_dwordx2 s[10:11], s[4:5], 0x20
                                        ; implicit-def: $vgpr61
                                        ; implicit-def: $vgpr6
	s_waitcnt lgkmcnt(0)
	v_mad_u64_u32 v[1:2], s[0:1], s6, v7, v[1:2]
	s_mov_b32 s0, 0x4104105
	v_mul_lo_u32 v3, s6, v8
	v_mul_lo_u32 v4, s7, v7
	v_mul_hi_u32 v5, v0, s0
	v_cmp_gt_u64_e32 vcc, s[10:11], v[7:8]
	v_cmp_le_u64_e64 s[0:1], s[10:11], v[7:8]
	v_add3_u32 v2, v4, v2, v3
	v_mul_u32_u24_e32 v3, 63, v5
	v_sub_u32_e32 v58, v0, v3
	v_add_u32_e32 v59, 63, v58
                                        ; implicit-def: $vgpr3
                                        ; implicit-def: $vgpr0
                                        ; implicit-def: $vgpr7
	s_and_saveexec_b64 s[4:5], s[0:1]
	s_xor_b64 s[0:1], exec, s[4:5]
; %bb.10:
	v_add_u32_e32 v61, 63, v58
	v_add_u32_e32 v3, 0x7e, v58
	;; [unrolled: 1-line block ×5, first 2 shown]
; %bb.11:
	s_or_saveexec_b64 s[4:5], s[0:1]
	v_lshlrev_b64 v[56:57], 4, v[1:2]
	s_xor_b64 exec, exec, s[4:5]
	s_cbranch_execz .LBB0_13
; %bb.12:
	v_mad_u64_u32 v[0:1], s[0:1], s2, v58, 0
	v_mov_b32_e32 v4, s13
	v_add_u32_e32 v36, 0x1b9, v58
	v_mad_u64_u32 v[1:2], s[0:1], s3, v58, v[1:2]
	v_mad_u64_u32 v[2:3], s[0:1], s2, v59, 0
	v_add_co_u32_e64 v52, s[0:1], s12, v56
	v_addc_co_u32_e64 v53, s[0:1], v4, v57, s[0:1]
	v_mad_u64_u32 v[3:4], s[0:1], s3, v59, v[3:4]
	v_lshlrev_b64 v[0:1], 4, v[0:1]
	v_add_u32_e32 v44, 0x237, v58
	v_add_co_u32_e64 v4, s[0:1], v52, v0
	v_addc_co_u32_e64 v5, s[0:1], v53, v1, s[0:1]
	v_lshlrev_b64 v[0:1], 4, v[2:3]
	v_add_u32_e32 v3, 0x7e, v58
	v_add_co_u32_e64 v6, s[0:1], v52, v0
	v_addc_co_u32_e64 v7, s[0:1], v53, v1, s[0:1]
	v_mad_u64_u32 v[1:2], s[0:1], s2, v3, 0
	v_add_u32_e32 v0, 0xbd, v58
	v_mad_u64_u32 v[16:17], s[0:1], s2, v0, 0
	v_mad_u64_u32 v[18:19], s[0:1], s3, v3, v[2:3]
	v_mov_b32_e32 v2, v17
	v_mad_u64_u32 v[19:20], s[0:1], s3, v0, v[2:3]
	v_mov_b32_e32 v2, v18
	v_lshlrev_b64 v[1:2], 4, v[1:2]
	v_mov_b32_e32 v17, v19
	global_load_dwordx4 v[8:11], v[4:5], off
	global_load_dwordx4 v[12:15], v[6:7], off
	v_lshlrev_b64 v[4:5], 4, v[16:17]
	v_add_co_u32_e64 v1, s[0:1], v52, v1
	v_addc_co_u32_e64 v2, s[0:1], v53, v2, s[0:1]
	v_add_co_u32_e64 v4, s[0:1], v52, v4
	v_add_u32_e32 v6, 0xfc, v58
	v_addc_co_u32_e64 v5, s[0:1], v53, v5, s[0:1]
	global_load_dwordx4 v[16:19], v[1:2], off
	global_load_dwordx4 v[20:23], v[4:5], off
	v_mad_u64_u32 v[1:2], s[0:1], s2, v6, 0
	v_add_u32_e32 v7, 0x13b, v58
	v_mad_u64_u32 v[4:5], s[0:1], s2, v7, 0
	v_mad_u64_u32 v[24:25], s[0:1], s3, v6, v[2:3]
	v_mov_b32_e32 v2, v5
	v_mad_u64_u32 v[25:26], s[0:1], s3, v7, v[2:3]
	v_mov_b32_e32 v2, v24
	v_lshlrev_b64 v[1:2], 4, v[1:2]
	v_mov_b32_e32 v5, v25
	v_add_co_u32_e64 v1, s[0:1], v52, v1
	v_add_u32_e32 v25, 0x17a, v58
	v_addc_co_u32_e64 v2, s[0:1], v53, v2, s[0:1]
	v_mad_u64_u32 v[32:33], s[0:1], s2, v25, 0
	v_lshlrev_b64 v[4:5], 4, v[4:5]
	v_add_u32_e32 v54, 0x2b5, v58
	v_add_co_u32_e64 v4, s[0:1], v52, v4
	v_mov_b32_e32 v24, v33
	v_addc_co_u32_e64 v5, s[0:1], v53, v5, s[0:1]
	v_mad_u64_u32 v[33:34], s[0:1], s3, v25, v[24:25]
	v_mad_u64_u32 v[34:35], s[0:1], s2, v36, 0
	global_load_dwordx4 v[24:27], v[1:2], off
	global_load_dwordx4 v[28:31], v[4:5], off
	v_lshlrev_b64 v[1:2], 4, v[32:33]
	v_mov_b32_e32 v4, v35
	v_mad_u64_u32 v[4:5], s[0:1], s3, v36, v[4:5]
	v_add_co_u32_e64 v1, s[0:1], v52, v1
	v_add_u32_e32 v33, 0x1f8, v58
	v_addc_co_u32_e64 v2, s[0:1], v53, v2, s[0:1]
	v_mad_u64_u32 v[40:41], s[0:1], s2, v33, 0
	v_mov_b32_e32 v35, v4
	v_lshlrev_b64 v[4:5], 4, v[34:35]
	v_mov_b32_e32 v32, v41
	v_add_co_u32_e64 v4, s[0:1], v52, v4
	v_addc_co_u32_e64 v5, s[0:1], v53, v5, s[0:1]
	v_mad_u64_u32 v[41:42], s[0:1], s3, v33, v[32:33]
	v_mad_u64_u32 v[42:43], s[0:1], s2, v44, 0
	global_load_dwordx4 v[32:35], v[1:2], off
	global_load_dwordx4 v[36:39], v[4:5], off
	v_lshlrev_b64 v[1:2], 4, v[40:41]
	v_mov_b32_e32 v4, v43
	v_mad_u64_u32 v[4:5], s[0:1], s3, v44, v[4:5]
	v_add_co_u32_e64 v1, s[0:1], v52, v1
	v_add_u32_e32 v41, 0x276, v58
	v_addc_co_u32_e64 v2, s[0:1], v53, v2, s[0:1]
	v_mad_u64_u32 v[48:49], s[0:1], s2, v41, 0
	v_mov_b32_e32 v43, v4
	v_lshlrev_b64 v[4:5], 4, v[42:43]
	v_mov_b32_e32 v40, v49
	v_add_co_u32_e64 v4, s[0:1], v52, v4
	v_addc_co_u32_e64 v5, s[0:1], v53, v5, s[0:1]
	v_mad_u64_u32 v[49:50], s[0:1], s3, v41, v[40:41]
	v_mad_u64_u32 v[50:51], s[0:1], s2, v54, 0
	global_load_dwordx4 v[40:43], v[1:2], off
	global_load_dwordx4 v[44:47], v[4:5], off
	v_lshlrev_b64 v[1:2], 4, v[48:49]
	v_mov_b32_e32 v4, v51
	v_mad_u64_u32 v[4:5], s[0:1], s3, v54, v[4:5]
	v_add_co_u32_e64 v1, s[0:1], v52, v1
	v_mov_b32_e32 v51, v4
	v_lshlrev_b64 v[4:5], 4, v[50:51]
	v_addc_co_u32_e64 v2, s[0:1], v53, v2, s[0:1]
	v_add_co_u32_e64 v4, s[0:1], v52, v4
	v_addc_co_u32_e64 v5, s[0:1], v53, v5, s[0:1]
	global_load_dwordx4 v[48:51], v[1:2], off
	global_load_dwordx4 v[52:55], v[4:5], off
	v_lshl_add_u32 v1, v58, 4, 0
	v_mov_b32_e32 v61, v59
	s_waitcnt vmcnt(11)
	ds_write_b128 v1, v[8:11]
	s_waitcnt vmcnt(10)
	ds_write_b128 v1, v[12:15] offset:1008
	s_waitcnt vmcnt(9)
	ds_write_b128 v1, v[16:19] offset:2016
	;; [unrolled: 2-line block ×11, first 2 shown]
.LBB0_13:
	s_or_b64 exec, exec, s[4:5]
	v_lshlrev_b32_e32 v1, 4, v58
	v_add_u32_e32 v60, 0, v1
	s_waitcnt lgkmcnt(0)
	; wave barrier
	s_waitcnt lgkmcnt(0)
	ds_read_b128 v[8:11], v60 offset:6048
	ds_read_b128 v[12:15], v60
	ds_read_b128 v[16:19], v60 offset:1008
	ds_read_b128 v[20:23], v60 offset:7056
	;; [unrolled: 1-line block ×8, first 2 shown]
	s_waitcnt lgkmcnt(8)
	v_add_f64 v[8:9], v[12:13], -v[8:9]
	v_add_f64 v[10:11], v[14:15], -v[10:11]
	s_waitcnt lgkmcnt(6)
	v_add_f64 v[48:49], v[16:17], -v[20:21]
	v_add_f64 v[50:51], v[18:19], -v[22:23]
	ds_read_b128 v[20:23], v60 offset:10080
	ds_read_b128 v[52:55], v60 offset:11088
	v_add_u32_e32 v1, v60, v1
	s_waitcnt lgkmcnt(0)
	; wave barrier
	s_waitcnt lgkmcnt(0)
	v_fma_f64 v[12:13], v[12:13], 2.0, -v[8:9]
	v_fma_f64 v[14:15], v[14:15], 2.0, -v[10:11]
	v_lshl_add_u32 v2, v0, 5, 0
	v_and_b32_e32 v78, 1, v61
	v_lshl_add_u32 v5, v6, 5, 0
	v_lshlrev_b32_e32 v4, 4, v78
	ds_write_b128 v1, v[12:15]
	ds_write_b128 v1, v[8:11] offset:16
	v_fma_f64 v[8:9], v[16:17], 2.0, -v[48:49]
	v_fma_f64 v[10:11], v[18:19], 2.0, -v[50:51]
	v_add_f64 v[12:13], v[24:25], -v[32:33]
	v_add_f64 v[14:15], v[26:27], -v[34:35]
	v_add_f64 v[16:17], v[28:29], -v[36:37]
	v_add_f64 v[18:19], v[30:31], -v[38:39]
	v_add_f64 v[32:33], v[40:41], -v[20:21]
	v_add_f64 v[34:35], v[42:43], -v[22:23]
	v_add_f64 v[36:37], v[44:45], -v[52:53]
	v_add_f64 v[38:39], v[46:47], -v[54:55]
	v_fma_f64 v[21:22], v[24:25], 2.0, -v[12:13]
	v_fma_f64 v[23:24], v[26:27], 2.0, -v[14:15]
	;; [unrolled: 1-line block ×8, first 2 shown]
	v_lshl_add_u32 v20, v61, 5, 0
	v_lshl_add_u32 v1, v3, 5, 0
	ds_write_b128 v20, v[8:11]
	ds_write_b128 v20, v[48:51] offset:16
	ds_write_b128 v1, v[21:24]
	ds_write_b128 v1, v[12:15] offset:16
	;; [unrolled: 2-line block ×3, first 2 shown]
	v_lshl_add_u32 v26, v7, 5, 0
	v_and_b32_e32 v79, 1, v0
	ds_write_b128 v5, v[40:43]
	ds_write_b128 v5, v[32:35] offset:16
	ds_write_b128 v26, v[44:47]
	ds_write_b128 v26, v[36:39] offset:16
	s_waitcnt lgkmcnt(0)
	; wave barrier
	s_waitcnt lgkmcnt(0)
	global_load_dwordx4 v[8:11], v4, s[8:9]
	v_lshlrev_b32_e32 v4, 4, v79
	v_and_b32_e32 v80, 1, v58
	global_load_dwordx4 v[12:15], v4, s[8:9]
	v_lshlrev_b32_e32 v4, 4, v80
	global_load_dwordx4 v[16:19], v4, s[8:9]
	v_and_b32_e32 v81, 1, v7
	v_lshlrev_b32_e32 v4, 4, v81
	global_load_dwordx4 v[22:25], v4, s[8:9]
	v_lshlrev_b32_e32 v29, 4, v7
	s_movk_i32 s0, 0x7c
	v_lshlrev_b32_e32 v30, 1, v58
	v_lshlrev_b32_e32 v4, 4, v3
	;; [unrolled: 1-line block ×4, first 2 shown]
	v_sub_u32_e32 v74, v26, v29
	v_and_or_b32 v26, v30, s0, v80
	v_sub_u32_e32 v1, v1, v4
	v_sub_u32_e32 v4, v2, v27
	v_sub_u32_e32 v5, v5, v28
	v_lshl_add_u32 v82, v26, 4, 0
	ds_read_b128 v[26:29], v60 offset:7056
	ds_read_b128 v[30:33], v60 offset:8064
	;; [unrolled: 1-line block ×5, first 2 shown]
	ds_read_b128 v[46:49], v60
	v_lshlrev_b32_e32 v21, 4, v61
	v_sub_u32_e32 v2, v20, v21
	ds_read_b128 v[50:53], v60 offset:11088
	ds_read_b128 v[62:65], v2
	s_movk_i32 s0, 0xfc
	v_lshlrev_b32_e32 v6, 1, v6
	s_mov_b32 s4, 0xe8584caa
	s_mov_b32 s5, 0x3febb67a
	;; [unrolled: 1-line block ×4, first 2 shown]
	s_waitcnt vmcnt(3) lgkmcnt(7)
	v_mul_f64 v[54:55], v[28:29], v[10:11]
	v_mul_f64 v[10:11], v[26:27], v[10:11]
	s_waitcnt vmcnt(2) lgkmcnt(5)
	v_mul_f64 v[66:67], v[36:37], v[14:15]
	v_mul_f64 v[14:15], v[34:35], v[14:15]
	;; [unrolled: 3-line block ×3, first 2 shown]
	v_fma_f64 v[54:55], v[26:27], v[8:9], -v[54:55]
	v_fma_f64 v[72:73], v[28:29], v[8:9], v[10:11]
	ds_read_b128 v[8:11], v74
	ds_read_b128 v[26:29], v5
	v_mul_f64 v[74:75], v[32:33], v[18:19]
	v_fma_f64 v[66:67], v[34:35], v[12:13], -v[66:67]
	v_fma_f64 v[42:43], v[42:43], v[16:17], -v[68:69]
	v_fma_f64 v[44:45], v[44:45], v[16:17], v[70:71]
	v_mul_f64 v[68:69], v[30:31], v[18:19]
	v_mul_f64 v[70:71], v[40:41], v[18:19]
	;; [unrolled: 1-line block ×3, first 2 shown]
	v_fma_f64 v[76:77], v[36:37], v[12:13], v[14:15]
	s_waitcnt vmcnt(0) lgkmcnt(3)
	v_mul_f64 v[34:35], v[52:53], v[24:25]
	v_mul_f64 v[24:25], v[50:51], v[24:25]
	v_add_f64 v[12:13], v[46:47], -v[42:43]
	v_add_f64 v[14:15], v[48:49], -v[44:45]
	v_fma_f64 v[74:75], v[30:31], v[16:17], -v[74:75]
	v_fma_f64 v[68:69], v[32:33], v[16:17], v[68:69]
	v_fma_f64 v[42:43], v[38:39], v[16:17], -v[70:71]
	v_fma_f64 v[44:45], v[40:41], v[16:17], v[18:19]
	s_waitcnt lgkmcnt(2)
	v_add_f64 v[16:17], v[62:63], -v[54:55]
	v_add_f64 v[18:19], v[64:65], -v[72:73]
	v_fma_f64 v[50:51], v[50:51], v[22:23], -v[34:35]
	v_fma_f64 v[52:53], v[52:53], v[22:23], v[24:25]
	v_fma_f64 v[22:23], v[46:47], 2.0, -v[12:13]
	v_fma_f64 v[24:25], v[48:49], 2.0, -v[14:15]
	ds_read_b128 v[30:33], v1
	ds_read_b128 v[34:37], v4
	s_waitcnt lgkmcnt(0)
	; wave barrier
	s_waitcnt lgkmcnt(0)
	ds_write_b128 v82, v[12:15] offset:32
	v_fma_f64 v[12:13], v[62:63], 2.0, -v[16:17]
	v_fma_f64 v[14:15], v[64:65], 2.0, -v[18:19]
	v_add_f64 v[38:39], v[30:31], -v[74:75]
	v_add_f64 v[40:41], v[32:33], -v[68:69]
	ds_write_b128 v82, v[22:25]
	v_lshlrev_b32_e32 v22, 1, v61
	v_and_or_b32 v22, v22, s0, v78
	v_lshl_add_u32 v46, v22, 4, 0
	v_add_f64 v[22:23], v[34:35], -v[66:67]
	v_add_f64 v[24:25], v[36:37], -v[76:77]
	ds_write_b128 v46, v[12:15]
	v_fma_f64 v[12:13], v[30:31], 2.0, -v[38:39]
	v_fma_f64 v[14:15], v[32:33], 2.0, -v[40:41]
	ds_write_b128 v46, v[16:19] offset:32
	s_movk_i32 s0, 0x1fc
	v_lshlrev_b32_e32 v16, 1, v3
	v_and_or_b32 v16, v16, s0, v80
	v_lshl_add_u32 v30, v16, 4, 0
	v_fma_f64 v[16:17], v[34:35], 2.0, -v[22:23]
	v_fma_f64 v[18:19], v[36:37], 2.0, -v[24:25]
	ds_write_b128 v30, v[12:15]
	ds_write_b128 v30, v[38:41] offset:32
	v_add_f64 v[12:13], v[26:27], -v[42:43]
	v_add_f64 v[14:15], v[28:29], -v[44:45]
	v_lshlrev_b32_e32 v30, 1, v0
	v_and_or_b32 v30, v30, s0, v79
	v_lshl_add_u32 v30, v30, 4, 0
	s_movk_i32 s0, 0x3fc
	ds_write_b128 v30, v[16:19]
	v_add_f64 v[16:17], v[8:9], -v[50:51]
	v_add_f64 v[18:19], v[10:11], -v[52:53]
	v_fma_f64 v[26:27], v[26:27], 2.0, -v[12:13]
	v_fma_f64 v[28:29], v[28:29], 2.0, -v[14:15]
	v_and_or_b32 v6, v6, s0, v80
	v_lshl_add_u32 v6, v6, 4, 0
	ds_write_b128 v30, v[22:25] offset:32
	ds_write_b128 v6, v[26:29]
	ds_write_b128 v6, v[12:15] offset:32
	v_fma_f64 v[8:9], v[8:9], 2.0, -v[16:17]
	v_fma_f64 v[10:11], v[10:11], 2.0, -v[18:19]
	v_lshlrev_b32_e32 v6, 1, v7
	s_movk_i32 s0, 0x2fc
	v_and_or_b32 v6, v6, s0, v81
	v_and_b32_e32 v76, 3, v58
	v_lshl_add_u32 v6, v6, 4, 0
	v_lshlrev_b32_e32 v14, 5, v76
	ds_write_b128 v6, v[8:11]
	ds_write_b128 v6, v[16:19] offset:32
	s_waitcnt lgkmcnt(0)
	; wave barrier
	s_waitcnt lgkmcnt(0)
	global_load_dwordx4 v[6:9], v14, s[8:9] offset:32
	global_load_dwordx4 v[10:13], v14, s[8:9] offset:48
	v_and_b32_e32 v77, 3, v61
	v_lshlrev_b32_e32 v18, 5, v77
	global_load_dwordx4 v[14:17], v18, s[8:9] offset:32
	global_load_dwordx4 v[22:25], v18, s[8:9] offset:48
	v_and_b32_e32 v78, 3, v3
	v_lshlrev_b32_e32 v18, 5, v78
	;; [unrolled: 4-line block ×3, first 2 shown]
	global_load_dwordx4 v[34:37], v18, s[8:9] offset:32
	global_load_dwordx4 v[38:41], v18, s[8:9] offset:48
	ds_read_b128 v[42:45], v5
	ds_read_b128 v[46:49], v4
	ds_read_b128 v[50:53], v60 offset:8064
	ds_read_b128 v[62:65], v60 offset:9072
	;; [unrolled: 1-line block ×3, first 2 shown]
	ds_read_b128 v[70:73], v60
	s_movk_i32 s0, 0xab
	s_waitcnt vmcnt(7) lgkmcnt(5)
	v_mul_f64 v[18:19], v[44:45], v[8:9]
	v_mul_f64 v[8:9], v[42:43], v[8:9]
	s_waitcnt vmcnt(6) lgkmcnt(3)
	v_mul_f64 v[54:55], v[52:53], v[12:13]
	v_mul_f64 v[12:13], v[50:51], v[12:13]
	;; [unrolled: 3-line block ×3, first 2 shown]
	v_fma_f64 v[18:19], v[42:43], v[6:7], -v[18:19]
	v_fma_f64 v[42:43], v[44:45], v[6:7], v[8:9]
	s_waitcnt lgkmcnt(1)
	v_mul_f64 v[44:45], v[68:69], v[16:17]
	v_mul_f64 v[16:17], v[66:67], v[16:17]
	v_fma_f64 v[50:51], v[50:51], v[10:11], -v[54:55]
	v_fma_f64 v[52:53], v[52:53], v[10:11], v[12:13]
	ds_read_b128 v[6:9], v60 offset:6048
	ds_read_b128 v[10:13], v60 offset:7056
	v_fma_f64 v[62:63], v[62:63], v[22:23], -v[74:75]
	v_fma_f64 v[64:65], v[64:65], v[22:23], v[24:25]
	ds_read_b128 v[22:25], v60 offset:11088
	v_fma_f64 v[44:45], v[66:67], v[14:15], -v[44:45]
	v_fma_f64 v[54:55], v[68:69], v[14:15], v[16:17]
	ds_read_b128 v[14:17], v60 offset:10080
	s_waitcnt vmcnt(3) lgkmcnt(3)
	v_mul_f64 v[66:67], v[8:9], v[28:29]
	v_mul_f64 v[28:29], v[6:7], v[28:29]
	s_waitcnt vmcnt(2) lgkmcnt(0)
	v_mul_f64 v[68:69], v[16:17], v[32:33]
	v_mul_f64 v[32:33], v[14:15], v[32:33]
	v_fma_f64 v[66:67], v[6:7], v[26:27], -v[66:67]
	v_fma_f64 v[74:75], v[8:9], v[26:27], v[28:29]
	s_waitcnt vmcnt(1)
	v_mul_f64 v[6:7], v[12:13], v[36:37]
	v_mul_f64 v[8:9], v[10:11], v[36:37]
	v_fma_f64 v[68:69], v[14:15], v[30:31], -v[68:69]
	v_fma_f64 v[30:31], v[16:17], v[30:31], v[32:33]
	s_waitcnt vmcnt(0)
	v_mul_f64 v[14:15], v[24:25], v[40:41]
	v_mul_f64 v[16:17], v[22:23], v[40:41]
	v_add_f64 v[26:27], v[18:19], v[50:51]
	v_add_f64 v[28:29], v[42:43], v[52:53]
	v_fma_f64 v[32:33], v[10:11], v[34:35], -v[6:7]
	v_add_f64 v[6:7], v[72:73], v[42:43]
	v_fma_f64 v[34:35], v[12:13], v[34:35], v[8:9]
	v_add_f64 v[10:11], v[70:71], v[18:19]
	v_fma_f64 v[36:37], v[22:23], v[38:39], -v[14:15]
	v_fma_f64 v[38:39], v[24:25], v[38:39], v[16:17]
	v_fma_f64 v[12:13], v[26:27], -0.5, v[70:71]
	v_fma_f64 v[16:17], v[28:29], -0.5, v[72:73]
	v_add_f64 v[14:15], v[42:43], -v[52:53]
	v_add_f64 v[18:19], v[18:19], -v[50:51]
	v_add_f64 v[8:9], v[6:7], v[52:53]
	v_add_f64 v[6:7], v[10:11], v[50:51]
	v_add_f64 v[50:51], v[54:55], -v[64:65]
	v_fma_f64 v[10:11], v[14:15], s[4:5], v[12:13]
	v_fma_f64 v[14:15], v[14:15], s[6:7], v[12:13]
	;; [unrolled: 1-line block ×4, first 2 shown]
	v_lshrrev_b32_e32 v18, 2, v58
	v_mul_u32_u24_e32 v22, 12, v18
	v_add_f64 v[18:19], v[44:45], v[62:63]
	v_or_b32_e32 v40, v22, v76
	ds_read_b128 v[22:25], v2
	ds_read_b128 v[26:29], v1
	v_lshl_add_u32 v52, v40, 4, 0
	v_add_f64 v[40:41], v[54:55], v[64:65]
	s_waitcnt lgkmcnt(0)
	v_add_f64 v[42:43], v[24:25], v[54:55]
	; wave barrier
	v_fma_f64 v[18:19], v[18:19], -0.5, v[22:23]
	v_add_f64 v[22:23], v[22:23], v[44:45]
	ds_write_b128 v52, v[6:9]
	ds_write_b128 v52, v[10:13] offset:64
	ds_write_b128 v52, v[14:17] offset:128
	v_lshrrev_b32_e32 v12, 2, v61
	v_fma_f64 v[16:17], v[40:41], -0.5, v[24:25]
	v_add_f64 v[24:25], v[44:45], -v[62:63]
	v_add_f64 v[8:9], v[42:43], v[64:65]
	v_fma_f64 v[10:11], v[50:51], s[4:5], v[18:19]
	v_fma_f64 v[14:15], v[50:51], s[6:7], v[18:19]
	v_add_f64 v[18:19], v[66:67], v[68:69]
	v_add_f64 v[6:7], v[22:23], v[62:63]
	v_mul_lo_u32 v22, v12, 12
	v_fma_f64 v[12:13], v[24:25], s[6:7], v[16:17]
	v_fma_f64 v[16:17], v[24:25], s[4:5], v[16:17]
	v_or_b32_e32 v24, v22, v77
	v_lshl_add_u32 v40, v24, 4, 0
	v_fma_f64 v[18:19], v[18:19], -0.5, v[26:27]
	v_add_f64 v[24:25], v[26:27], v[66:67]
	v_add_f64 v[26:27], v[74:75], -v[30:31]
	v_add_f64 v[22:23], v[74:75], v[30:31]
	ds_write_b128 v40, v[6:9]
	v_add_f64 v[6:7], v[28:29], v[74:75]
	ds_write_b128 v40, v[10:13] offset:64
	ds_write_b128 v40, v[14:17] offset:128
	v_add_f64 v[16:17], v[32:33], v[36:37]
	v_fma_f64 v[10:11], v[26:27], s[4:5], v[18:19]
	v_fma_f64 v[14:15], v[26:27], s[6:7], v[18:19]
	v_add_f64 v[18:19], v[34:35], v[38:39]
	v_fma_f64 v[22:23], v[22:23], -0.5, v[28:29]
	v_add_f64 v[28:29], v[66:67], -v[68:69]
	v_add_f64 v[8:9], v[6:7], v[30:31]
	v_add_f64 v[6:7], v[24:25], v[68:69]
	v_lshrrev_b32_e32 v24, 2, v3
	v_mul_lo_u32 v40, v24, 12
	v_add_f64 v[24:25], v[48:49], v[34:35]
	v_add_f64 v[26:27], v[46:47], v[32:33]
	v_fma_f64 v[30:31], v[16:17], -0.5, v[46:47]
	v_add_f64 v[34:35], v[34:35], -v[38:39]
	v_fma_f64 v[18:19], v[18:19], -0.5, v[48:49]
	v_add_f64 v[32:33], v[32:33], -v[36:37]
	v_fma_f64 v[12:13], v[28:29], s[6:7], v[22:23]
	v_fma_f64 v[16:17], v[28:29], s[4:5], v[22:23]
	v_or_b32_e32 v22, v40, v78
	v_lshl_add_u32 v40, v22, 4, 0
	v_add_f64 v[24:25], v[24:25], v[38:39]
	v_add_f64 v[22:23], v[26:27], v[36:37]
	v_fma_f64 v[26:27], v[34:35], s[4:5], v[30:31]
	v_fma_f64 v[28:29], v[32:33], s[6:7], v[18:19]
	;; [unrolled: 1-line block ×3, first 2 shown]
	v_lshrrev_b32_e32 v18, 2, v0
	v_fma_f64 v[30:31], v[34:35], s[6:7], v[30:31]
	v_mul_lo_u32 v18, v18, 12
	ds_write_b128 v40, v[6:9]
	ds_write_b128 v40, v[10:13] offset:64
	ds_write_b128 v40, v[14:17] offset:128
	v_or_b32_e32 v6, v18, v79
	v_lshl_add_u32 v6, v6, 4, 0
	ds_write_b128 v6, v[22:25]
	ds_write_b128 v6, v[26:29] offset:64
	ds_write_b128 v6, v[30:33] offset:128
	v_mul_lo_u16_sdwa v6, v58, s0 dst_sel:DWORD dst_unused:UNUSED_PAD src0_sel:BYTE_0 src1_sel:DWORD
	v_lshrrev_b16_e32 v19, 11, v6
	v_mul_lo_u16_e32 v6, 12, v19
	v_sub_u16_e32 v78, v58, v6
	v_mov_b32_e32 v6, 5
	v_lshlrev_b32_sdwa v15, v6, v78 dst_sel:DWORD dst_unused:UNUSED_PAD src0_sel:DWORD src1_sel:BYTE_0
	s_waitcnt lgkmcnt(0)
	; wave barrier
	s_waitcnt lgkmcnt(0)
	global_load_dwordx4 v[7:10], v15, s[8:9] offset:160
	global_load_dwordx4 v[11:14], v15, s[8:9] offset:176
	v_mul_lo_u16_sdwa v15, v61, s0 dst_sel:DWORD dst_unused:UNUSED_PAD src0_sel:BYTE_0 src1_sel:DWORD
	v_lshrrev_b16_e32 v79, 11, v15
	v_mul_lo_u16_e32 v15, 12, v79
	v_sub_u16_e32 v80, v61, v15
	v_lshlrev_b32_sdwa v26, v6, v80 dst_sel:DWORD dst_unused:UNUSED_PAD src0_sel:DWORD src1_sel:BYTE_0
	global_load_dwordx4 v[15:18], v26, s[8:9] offset:160
	global_load_dwordx4 v[22:25], v26, s[8:9] offset:176
	v_mul_lo_u16_sdwa v26, v3, s0 dst_sel:DWORD dst_unused:UNUSED_PAD src0_sel:BYTE_0 src1_sel:DWORD
	v_lshrrev_b16_e32 v81, 11, v26
	v_mul_lo_u16_e32 v26, 12, v81
	v_sub_u16_e32 v82, v3, v26
	v_lshlrev_b32_sdwa v34, v6, v82 dst_sel:DWORD dst_unused:UNUSED_PAD src0_sel:DWORD src1_sel:BYTE_0
	;; [unrolled: 7-line block ×3, first 2 shown]
	global_load_dwordx4 v[34:37], v42, s[8:9] offset:160
	global_load_dwordx4 v[38:41], v42, s[8:9] offset:176
	ds_read_b128 v[42:45], v5
	ds_read_b128 v[46:49], v4
	ds_read_b128 v[50:53], v60 offset:8064
	v_mul_u32_u24_e32 v19, 0x240, v19
	v_cmp_gt_u32_e64 s[0:1], 36, v58
	s_waitcnt vmcnt(7) lgkmcnt(2)
	v_mul_f64 v[54:55], v[44:45], v[9:10]
	v_mul_f64 v[9:10], v[42:43], v[9:10]
	s_waitcnt vmcnt(6) lgkmcnt(0)
	v_mul_f64 v[68:69], v[52:53], v[13:14]
	v_mul_f64 v[13:14], v[50:51], v[13:14]
	v_fma_f64 v[54:55], v[42:43], v[7:8], -v[54:55]
	v_fma_f64 v[66:67], v[44:45], v[7:8], v[9:10]
	ds_read_b128 v[7:10], v60 offset:5040
	ds_read_b128 v[42:45], v60 offset:9072
	ds_read_b128 v[62:65], v60
	v_fma_f64 v[50:51], v[50:51], v[11:12], -v[68:69]
	v_fma_f64 v[52:53], v[52:53], v[11:12], v[13:14]
	ds_read_b128 v[11:14], v60 offset:6048
	s_waitcnt vmcnt(5) lgkmcnt(3)
	v_mul_f64 v[70:71], v[9:10], v[17:18]
	v_mul_f64 v[17:18], v[7:8], v[17:18]
	s_waitcnt vmcnt(3) lgkmcnt(0)
	v_mul_f64 v[74:75], v[13:14], v[28:29]
	v_mul_f64 v[28:29], v[11:12], v[28:29]
	v_fma_f64 v[68:69], v[7:8], v[15:16], -v[70:71]
	v_mul_f64 v[70:71], v[44:45], v[24:25]
	v_mul_f64 v[24:25], v[42:43], v[24:25]
	v_fma_f64 v[72:73], v[9:10], v[15:16], v[17:18]
	ds_read_b128 v[7:10], v60 offset:7056
	ds_read_b128 v[15:18], v60 offset:10080
	v_fma_f64 v[42:43], v[42:43], v[22:23], -v[70:71]
	v_fma_f64 v[44:45], v[44:45], v[22:23], v[24:25]
	s_waitcnt vmcnt(2) lgkmcnt(0)
	v_mul_f64 v[22:23], v[17:18], v[32:33]
	v_mul_f64 v[24:25], v[15:16], v[32:33]
	v_fma_f64 v[70:71], v[11:12], v[26:27], -v[74:75]
	v_fma_f64 v[74:75], v[13:14], v[26:27], v[28:29]
	ds_read_b128 v[11:14], v60 offset:11088
	v_add_f64 v[26:27], v[54:55], v[50:51]
	v_add_f64 v[28:29], v[66:67], v[52:53]
	v_fma_f64 v[32:33], v[15:16], v[30:31], -v[22:23]
	v_fma_f64 v[76:77], v[17:18], v[30:31], v[24:25]
	s_waitcnt vmcnt(1)
	v_mul_f64 v[15:16], v[9:10], v[36:37]
	v_mul_f64 v[17:18], v[7:8], v[36:37]
	s_waitcnt vmcnt(0) lgkmcnt(0)
	v_mul_f64 v[22:23], v[13:14], v[40:41]
	v_mul_f64 v[36:37], v[11:12], v[40:41]
	v_fma_f64 v[24:25], v[26:27], -0.5, v[62:63]
	v_fma_f64 v[26:27], v[28:29], -0.5, v[64:65]
	v_add_f64 v[30:31], v[62:63], v[54:55]
	v_add_f64 v[40:41], v[66:67], -v[52:53]
	v_add_f64 v[54:55], v[54:55], -v[50:51]
	v_add_f64 v[28:29], v[64:65], v[66:67]
	v_fma_f64 v[64:65], v[11:12], v[38:39], -v[22:23]
	v_fma_f64 v[36:37], v[13:14], v[38:39], v[36:37]
	v_add_f64 v[38:39], v[68:69], v[42:43]
	v_fma_f64 v[62:63], v[7:8], v[34:35], -v[15:16]
	v_fma_f64 v[34:35], v[9:10], v[34:35], v[17:18]
	v_fma_f64 v[11:12], v[40:41], s[4:5], v[24:25]
	;; [unrolled: 1-line block ×5, first 2 shown]
	ds_read_b128 v[23:26], v2
	v_mov_b32_e32 v22, 4
	v_add_f64 v[40:41], v[72:73], v[44:45]
	v_lshlrev_b32_sdwa v27, v22, v78 dst_sel:DWORD dst_unused:UNUSED_PAD src0_sel:DWORD src1_sel:BYTE_0
	v_add_f64 v[9:10], v[28:29], v[52:53]
	v_add_f64 v[7:8], v[30:31], v[50:51]
	v_add3_u32 v19, 0, v19, v27
	ds_read_b128 v[27:30], v1
	s_waitcnt lgkmcnt(1)
	v_fma_f64 v[38:39], v[38:39], -0.5, v[23:24]
	v_add_f64 v[23:24], v[23:24], v[68:69]
	v_fma_f64 v[40:41], v[40:41], -0.5, v[25:26]
	v_add_f64 v[25:26], v[25:26], v[72:73]
	s_waitcnt lgkmcnt(0)
	; wave barrier
	v_add_f64 v[50:51], v[72:73], -v[44:45]
	v_add_f64 v[52:53], v[68:69], -v[42:43]
	s_waitcnt lgkmcnt(0)
	ds_write_b128 v19, v[7:10]
	ds_write_b128 v19, v[11:14] offset:192
	ds_write_b128 v19, v[15:18] offset:384
	v_add_f64 v[7:8], v[23:24], v[42:43]
	v_add_f64 v[23:24], v[70:71], v[32:33]
	;; [unrolled: 1-line block ×4, first 2 shown]
	v_fma_f64 v[11:12], v[50:51], s[4:5], v[38:39]
	v_fma_f64 v[13:14], v[52:53], s[6:7], v[40:41]
	;; [unrolled: 1-line block ×4, first 2 shown]
	v_add_f64 v[38:39], v[74:75], -v[76:77]
	v_fma_f64 v[23:24], v[23:24], -0.5, v[27:28]
	v_mul_u32_u24_e32 v19, 0x240, v79
	v_lshlrev_b32_sdwa v31, v22, v80 dst_sel:DWORD dst_unused:UNUSED_PAD src0_sel:DWORD src1_sel:BYTE_0
	v_add3_u32 v19, 0, v19, v31
	ds_write_b128 v19, v[7:10]
	v_add_f64 v[7:8], v[29:30], v[74:75]
	v_add_f64 v[27:28], v[27:28], v[70:71]
	v_fma_f64 v[25:26], v[25:26], -0.5, v[29:30]
	v_add_f64 v[29:30], v[70:71], -v[32:33]
	ds_write_b128 v19, v[11:14] offset:192
	ds_write_b128 v19, v[15:18] offset:384
	v_add_f64 v[40:41], v[62:63], v[64:65]
	v_fma_f64 v[11:12], v[38:39], s[4:5], v[23:24]
	v_fma_f64 v[15:16], v[38:39], s[6:7], v[23:24]
	v_add_f64 v[23:24], v[34:35], v[36:37]
	v_add_f64 v[9:10], v[7:8], v[76:77]
	;; [unrolled: 1-line block ×3, first 2 shown]
	v_fma_f64 v[13:14], v[29:30], s[6:7], v[25:26]
	v_fma_f64 v[17:18], v[29:30], s[4:5], v[25:26]
	v_add_f64 v[27:28], v[48:49], v[34:35]
	v_add_f64 v[29:30], v[46:47], v[62:63]
	v_fma_f64 v[25:26], v[40:41], -0.5, v[46:47]
	v_add_f64 v[31:32], v[34:35], -v[36:37]
	v_fma_f64 v[33:34], v[23:24], -0.5, v[48:49]
	v_add_f64 v[38:39], v[62:63], -v[64:65]
	v_mul_u32_u24_e32 v19, 0x240, v81
	v_lshlrev_b32_sdwa v23, v22, v82 dst_sel:DWORD dst_unused:UNUSED_PAD src0_sel:DWORD src1_sel:BYTE_0
	v_add3_u32 v19, 0, v19, v23
	ds_write_b128 v19, v[7:10]
	v_add_f64 v[9:10], v[27:28], v[36:37]
	v_add_f64 v[7:8], v[29:30], v[64:65]
	v_fma_f64 v[23:24], v[31:32], s[4:5], v[25:26]
	v_fma_f64 v[27:28], v[31:32], s[6:7], v[25:26]
	;; [unrolled: 1-line block ×4, first 2 shown]
	ds_write_b128 v19, v[11:14] offset:192
	ds_write_b128 v19, v[15:18] offset:384
	v_mul_u32_u24_e32 v11, 0x240, v83
	v_lshlrev_b32_sdwa v12, v22, v84 dst_sel:DWORD dst_unused:UNUSED_PAD src0_sel:DWORD src1_sel:BYTE_0
	v_add3_u32 v11, 0, v11, v12
	ds_write_b128 v11, v[7:10]
	ds_write_b128 v11, v[23:26] offset:192
	ds_write_b128 v11, v[27:30] offset:384
	v_subrev_u32_e32 v7, 36, v58
	v_cndmask_b32_e64 v19, v7, v58, s[0:1]
	v_lshlrev_b32_e32 v7, 1, v19
	v_mov_b32_e32 v8, 0
	v_lshlrev_b64 v[7:8], 4, v[7:8]
	v_mov_b32_e32 v9, s9
	v_add_co_u32_e64 v15, s[0:1], s8, v7
	v_addc_co_u32_e64 v16, s[0:1], v9, v8, s[0:1]
	s_waitcnt lgkmcnt(0)
	; wave barrier
	s_waitcnt lgkmcnt(0)
	global_load_dwordx4 v[7:10], v[15:16], off offset:544
	global_load_dwordx4 v[11:14], v[15:16], off offset:560
	v_mov_b32_e32 v35, 57
	v_mul_lo_u16_sdwa v15, v61, v35 dst_sel:DWORD dst_unused:UNUSED_PAD src0_sel:BYTE_0 src1_sel:DWORD
	v_lshrrev_b16_e32 v55, 11, v15
	v_mul_lo_u16_e32 v15, 36, v55
	v_sub_u16_e32 v76, v61, v15
	v_lshlrev_b32_sdwa v27, v6, v76 dst_sel:DWORD dst_unused:UNUSED_PAD src0_sel:DWORD src1_sel:BYTE_0
	global_load_dwordx4 v[15:18], v27, s[8:9] offset:544
	global_load_dwordx4 v[23:26], v27, s[8:9] offset:560
	v_mul_lo_u16_sdwa v27, v3, v35 dst_sel:DWORD dst_unused:UNUSED_PAD src0_sel:BYTE_0 src1_sel:DWORD
	v_lshrrev_b16_e32 v77, 11, v27
	v_mul_lo_u16_e32 v27, 36, v77
	v_sub_u16_e32 v78, v3, v27
	v_lshlrev_b32_sdwa v3, v6, v78 dst_sel:DWORD dst_unused:UNUSED_PAD src0_sel:DWORD src1_sel:BYTE_0
	global_load_dwordx4 v[27:30], v3, s[8:9] offset:544
	global_load_dwordx4 v[31:34], v3, s[8:9] offset:560
	;; [unrolled: 7-line block ×3, first 2 shown]
	ds_read_b128 v[43:46], v5
	ds_read_b128 v[3:6], v4
	ds_read_b128 v[47:50], v60 offset:8064
	v_mov_b32_e32 v0, 0x6c0
	v_cmp_lt_u32_e64 s[0:1], 35, v58
	v_cndmask_b32_e64 v0, 0, v0, s[0:1]
	v_lshlrev_b32_e32 v19, 4, v19
	v_add3_u32 v19, 0, v0, v19
	v_cmp_gt_u32_e64 s[0:1], 45, v58
	s_waitcnt vmcnt(7) lgkmcnt(2)
	v_mul_f64 v[51:52], v[45:46], v[9:10]
	v_mul_f64 v[9:10], v[43:44], v[9:10]
	s_waitcnt vmcnt(6) lgkmcnt(0)
	v_mul_f64 v[66:67], v[49:50], v[13:14]
	v_mul_f64 v[13:14], v[47:48], v[13:14]
	v_fma_f64 v[62:63], v[43:44], v[7:8], -v[51:52]
	v_fma_f64 v[64:65], v[45:46], v[7:8], v[9:10]
	ds_read_b128 v[7:10], v60 offset:5040
	ds_read_b128 v[43:46], v60 offset:9072
	ds_read_b128 v[51:54], v60
	v_fma_f64 v[47:48], v[47:48], v[11:12], -v[66:67]
	v_fma_f64 v[49:50], v[49:50], v[11:12], v[13:14]
	ds_read_b128 v[11:14], v60 offset:6048
	s_waitcnt vmcnt(5) lgkmcnt(3)
	v_mul_f64 v[68:69], v[9:10], v[17:18]
	v_mul_f64 v[17:18], v[7:8], v[17:18]
	s_waitcnt vmcnt(3) lgkmcnt(0)
	v_mul_f64 v[72:73], v[13:14], v[29:30]
	v_mul_f64 v[29:30], v[11:12], v[29:30]
	v_fma_f64 v[66:67], v[7:8], v[15:16], -v[68:69]
	v_mul_f64 v[68:69], v[45:46], v[25:26]
	v_fma_f64 v[70:71], v[9:10], v[15:16], v[17:18]
	ds_read_b128 v[7:10], v60 offset:7056
	ds_read_b128 v[15:18], v60 offset:10080
	v_mul_f64 v[25:26], v[43:44], v[25:26]
	v_fma_f64 v[72:73], v[11:12], v[27:28], -v[72:73]
	v_fma_f64 v[74:75], v[13:14], v[27:28], v[29:30]
	s_waitcnt vmcnt(1) lgkmcnt(1)
	v_mul_f64 v[11:12], v[9:10], v[37:38]
	v_fma_f64 v[43:44], v[43:44], v[23:24], -v[68:69]
	s_waitcnt lgkmcnt(0)
	v_mul_f64 v[68:69], v[17:18], v[33:34]
	v_mul_f64 v[33:34], v[15:16], v[33:34]
	v_add_f64 v[13:14], v[62:63], v[47:48]
	v_fma_f64 v[45:46], v[45:46], v[23:24], v[25:26]
	ds_read_b128 v[23:26], v60 offset:11088
	v_add_f64 v[27:28], v[53:54], v[64:65]
	v_add_f64 v[29:30], v[51:52], v[62:63]
	v_fma_f64 v[68:69], v[15:16], v[31:32], -v[68:69]
	v_fma_f64 v[31:32], v[17:18], v[31:32], v[33:34]
	v_add_f64 v[17:18], v[64:65], v[49:50]
	v_mul_f64 v[15:16], v[7:8], v[37:38]
	v_fma_f64 v[33:34], v[7:8], v[35:36], -v[11:12]
	s_waitcnt vmcnt(0) lgkmcnt(0)
	v_mul_f64 v[7:8], v[25:26], v[41:42]
	v_mul_f64 v[11:12], v[23:24], v[41:42]
	v_fma_f64 v[13:14], v[13:14], -0.5, v[51:52]
	v_add_f64 v[37:38], v[64:65], -v[49:50]
	v_add_f64 v[41:42], v[62:63], -v[47:48]
	v_fma_f64 v[17:18], v[17:18], -0.5, v[53:54]
	v_fma_f64 v[35:36], v[9:10], v[35:36], v[15:16]
	v_add_f64 v[9:10], v[27:28], v[49:50]
	v_fma_f64 v[51:52], v[23:24], v[39:40], -v[7:8]
	v_fma_f64 v[39:40], v[25:26], v[39:40], v[11:12]
	ds_read_b128 v[23:26], v2
	v_fma_f64 v[11:12], v[37:38], s[4:5], v[13:14]
	v_fma_f64 v[15:16], v[37:38], s[6:7], v[13:14]
	v_add_f64 v[37:38], v[66:67], v[43:44]
	v_fma_f64 v[13:14], v[41:42], s[6:7], v[17:18]
	v_fma_f64 v[17:18], v[41:42], s[4:5], v[17:18]
	v_add_f64 v[41:42], v[70:71], v[45:46]
	v_add_f64 v[7:8], v[29:30], v[47:48]
	ds_read_b128 v[27:30], v1
	v_add_f64 v[47:48], v[70:71], -v[45:46]
	s_waitcnt lgkmcnt(0)
	v_fma_f64 v[0:1], v[37:38], -0.5, v[23:24]
	v_add_f64 v[37:38], v[25:26], v[70:71]
	v_add_f64 v[23:24], v[23:24], v[66:67]
	v_fma_f64 v[25:26], v[41:42], -0.5, v[25:26]
	v_add_f64 v[41:42], v[66:67], -v[43:44]
	; wave barrier
	ds_write_b128 v19, v[7:10]
	ds_write_b128 v19, v[11:14] offset:576
	ds_write_b128 v19, v[15:18] offset:1152
	v_mul_u32_u24_e32 v2, 0x6c0, v55
	v_fma_f64 v[11:12], v[47:48], s[4:5], v[0:1]
	v_add_f64 v[9:10], v[37:38], v[45:46]
	v_add_f64 v[7:8], v[23:24], v[43:44]
	v_lshlrev_b32_sdwa v19, v22, v76 dst_sel:DWORD dst_unused:UNUSED_PAD src0_sel:DWORD src1_sel:BYTE_0
	v_fma_f64 v[13:14], v[41:42], s[6:7], v[25:26]
	v_add3_u32 v2, 0, v2, v19
	v_fma_f64 v[15:16], v[47:48], s[6:7], v[0:1]
	v_add_f64 v[0:1], v[72:73], v[68:69]
	v_fma_f64 v[17:18], v[41:42], s[4:5], v[25:26]
	v_add_f64 v[37:38], v[33:34], v[51:52]
	ds_write_b128 v2, v[7:10]
	v_add_f64 v[9:10], v[29:30], v[74:75]
	v_add_f64 v[7:8], v[74:75], v[31:32]
	ds_write_b128 v2, v[11:14] offset:576
	v_add_f64 v[11:12], v[27:28], v[72:73]
	v_fma_f64 v[13:14], v[0:1], -0.5, v[27:28]
	v_add_f64 v[27:28], v[74:75], -v[31:32]
	ds_write_b128 v2, v[15:18] offset:1152
	v_add_f64 v[17:18], v[5:6], v[35:36]
	v_add_f64 v[25:26], v[9:10], v[31:32]
	v_add_f64 v[9:10], v[35:36], v[39:40]
	v_fma_f64 v[7:8], v[7:8], -0.5, v[29:30]
	v_add_f64 v[23:24], v[11:12], v[68:69]
	v_add_f64 v[11:12], v[72:73], -v[68:69]
	v_add_f64 v[29:30], v[3:4], v[33:34]
	v_fma_f64 v[15:16], v[37:38], -0.5, v[3:4]
	v_add_f64 v[31:32], v[35:36], -v[39:40]
	v_add_f64 v[33:34], v[33:34], -v[51:52]
	v_fma_f64 v[35:36], v[9:10], -0.5, v[5:6]
	v_fma_f64 v[0:1], v[27:28], s[4:5], v[13:14]
	v_fma_f64 v[4:5], v[27:28], s[6:7], v[13:14]
	;; [unrolled: 1-line block ×4, first 2 shown]
	v_add_f64 v[10:11], v[17:18], v[39:40]
	v_add_f64 v[8:9], v[29:30], v[51:52]
	v_fma_f64 v[12:13], v[31:32], s[4:5], v[15:16]
	v_fma_f64 v[16:17], v[31:32], s[6:7], v[15:16]
	;; [unrolled: 1-line block ×4, first 2 shown]
	v_mul_u32_u24_e32 v27, 0x6c0, v77
	v_lshlrev_b32_sdwa v28, v22, v78 dst_sel:DWORD dst_unused:UNUSED_PAD src0_sel:DWORD src1_sel:BYTE_0
	v_add3_u32 v27, 0, v27, v28
	ds_write_b128 v27, v[23:26]
	ds_write_b128 v27, v[0:3] offset:576
	ds_write_b128 v27, v[4:7] offset:1152
	v_lshlrev_b32_sdwa v22, v22, v80 dst_sel:DWORD dst_unused:UNUSED_PAD src0_sel:DWORD src1_sel:BYTE_0
	v_mul_u32_u24_e32 v23, 0x6c0, v79
	v_add3_u32 v22, 0, v23, v22
	ds_write_b128 v22, v[8:11]
	ds_write_b128 v22, v[12:15] offset:576
	ds_write_b128 v22, v[16:19] offset:1152
	s_waitcnt lgkmcnt(0)
	; wave barrier
	s_waitcnt lgkmcnt(0)
	ds_read_b128 v[28:31], v60
	ds_read_b128 v[52:55], v60 offset:1728
	ds_read_b128 v[48:51], v60 offset:3456
	;; [unrolled: 1-line block ×6, first 2 shown]
                                        ; implicit-def: $vgpr26_vgpr27
                                        ; implicit-def: $vgpr22_vgpr23
	s_and_saveexec_b64 s[4:5], s[0:1]
	s_cbranch_execz .LBB0_15
; %bb.14:
	v_sub_u32_e32 v0, 0, v21
	v_add_u32_e32 v0, v20, v0
	ds_read_b128 v[0:3], v0
	ds_read_b128 v[4:7], v60 offset:2736
	ds_read_b128 v[8:11], v60 offset:4464
	;; [unrolled: 1-line block ×6, first 2 shown]
.LBB0_15:
	s_or_b64 exec, exec, s[4:5]
	v_mul_u32_u24_e32 v62, 6, v58
	v_lshlrev_b32_e32 v80, 4, v62
	global_load_dwordx4 v[62:65], v80, s[8:9] offset:1744
	global_load_dwordx4 v[66:69], v80, s[8:9] offset:1728
	;; [unrolled: 1-line block ×4, first 2 shown]
	s_mov_b32 s4, 0x37e14327
	s_mov_b32 s10, 0x36b3c0b5
	;; [unrolled: 1-line block ×20, first 2 shown]
	s_waitcnt vmcnt(0) lgkmcnt(5)
	v_mul_f64 v[78:79], v[54:55], v[76:77]
	v_fma_f64 v[78:79], v[52:53], v[74:75], -v[78:79]
	v_mul_f64 v[52:53], v[52:53], v[76:77]
	v_fma_f64 v[52:53], v[54:55], v[74:75], v[52:53]
	s_waitcnt lgkmcnt(4)
	v_mul_f64 v[54:55], v[50:51], v[72:73]
	v_fma_f64 v[54:55], v[48:49], v[70:71], -v[54:55]
	v_mul_f64 v[48:49], v[48:49], v[72:73]
	v_fma_f64 v[48:49], v[50:51], v[70:71], v[48:49]
	s_waitcnt lgkmcnt(3)
	;; [unrolled: 5-line block ×3, first 2 shown]
	v_mul_f64 v[44:45], v[42:43], v[64:65]
	v_fma_f64 v[68:69], v[40:41], v[62:63], -v[44:45]
	v_mul_f64 v[40:41], v[40:41], v[64:65]
	v_fma_f64 v[62:63], v[42:43], v[62:63], v[40:41]
	global_load_dwordx4 v[40:43], v80, s[8:9] offset:1776
	global_load_dwordx4 v[44:47], v80, s[8:9] offset:1760
	s_waitcnt lgkmcnt(0)
	; wave barrier
	s_waitcnt vmcnt(0) lgkmcnt(0)
	v_mul_f64 v[64:65], v[38:39], v[46:47]
	v_fma_f64 v[64:65], v[36:37], v[44:45], -v[64:65]
	v_mul_f64 v[36:37], v[36:37], v[46:47]
	v_add_f64 v[46:47], v[54:55], -v[64:65]
	v_fma_f64 v[36:37], v[38:39], v[44:45], v[36:37]
	v_mul_f64 v[38:39], v[34:35], v[42:43]
	v_add_f64 v[44:45], v[48:49], v[36:37]
	v_fma_f64 v[38:39], v[32:33], v[40:41], -v[38:39]
	v_mul_f64 v[32:33], v[32:33], v[42:43]
	v_add_f64 v[42:43], v[54:55], v[64:65]
	v_add_f64 v[36:37], v[48:49], -v[36:37]
	v_add_f64 v[48:49], v[50:51], v[68:69]
	v_add_f64 v[50:51], v[68:69], -v[50:51]
	v_add_f64 v[54:55], v[62:63], -v[66:67]
	v_fma_f64 v[32:33], v[34:35], v[40:41], v[32:33]
	v_add_f64 v[34:35], v[78:79], v[38:39]
	v_add_f64 v[38:39], v[78:79], -v[38:39]
	v_add_f64 v[70:71], v[50:51], v[46:47]
	v_add_f64 v[72:73], v[54:55], v[36:37]
	v_add_f64 v[74:75], v[50:51], -v[46:47]
	v_add_f64 v[76:77], v[54:55], -v[36:37]
	v_add_f64 v[40:41], v[52:53], v[32:33]
	v_add_f64 v[32:33], v[52:53], -v[32:33]
	v_add_f64 v[52:53], v[66:67], v[62:63]
	v_add_f64 v[62:63], v[42:43], v[34:35]
	v_add_f64 v[66:67], v[42:43], -v[34:35]
	v_add_f64 v[34:35], v[34:35], -v[48:49]
	;; [unrolled: 1-line block ×4, first 2 shown]
	v_add_f64 v[64:65], v[44:45], v[40:41]
	v_add_f64 v[68:69], v[44:45], -v[40:41]
	v_add_f64 v[40:41], v[40:41], -v[52:53]
	;; [unrolled: 1-line block ×3, first 2 shown]
	v_add_f64 v[48:49], v[48:49], v[62:63]
	v_add_f64 v[36:37], v[36:37], -v[32:33]
	v_add_f64 v[50:51], v[38:39], -v[50:51]
	;; [unrolled: 1-line block ×3, first 2 shown]
	v_add_f64 v[52:53], v[52:53], v[64:65]
	v_add_f64 v[38:39], v[70:71], v[38:39]
	;; [unrolled: 1-line block ×3, first 2 shown]
	v_mul_f64 v[34:35], v[34:35], s[4:5]
	v_add_f64 v[28:29], v[28:29], v[48:49]
	v_mul_f64 v[40:41], v[40:41], s[4:5]
	v_mul_f64 v[62:63], v[42:43], s[10:11]
	;; [unrolled: 1-line block ×3, first 2 shown]
	v_add_f64 v[30:31], v[30:31], v[52:53]
	v_mul_f64 v[70:71], v[74:75], s[16:17]
	v_mul_f64 v[72:73], v[76:77], s[16:17]
	;; [unrolled: 1-line block ×4, first 2 shown]
	v_fma_f64 v[48:49], v[48:49], s[14:15], v[28:29]
	v_fma_f64 v[42:43], v[42:43], s[10:11], v[34:35]
	;; [unrolled: 1-line block ×4, first 2 shown]
	v_fma_f64 v[62:63], v[66:67], s[18:19], -v[62:63]
	v_fma_f64 v[64:65], v[68:69], s[18:19], -v[64:65]
	;; [unrolled: 1-line block ×4, first 2 shown]
	v_fma_f64 v[66:67], v[50:51], s[22:23], v[70:71]
	v_fma_f64 v[68:69], v[54:55], s[22:23], v[72:73]
	v_fma_f64 v[50:51], v[50:51], s[26:27], -v[74:75]
	v_fma_f64 v[54:55], v[54:55], s[26:27], -v[76:77]
	;; [unrolled: 1-line block ×4, first 2 shown]
	v_add_f64 v[70:71], v[42:43], v[48:49]
	v_add_f64 v[72:73], v[44:45], v[52:53]
	;; [unrolled: 1-line block ×4, first 2 shown]
	v_fma_f64 v[64:65], v[38:39], s[24:25], v[66:67]
	v_fma_f64 v[66:67], v[32:33], s[24:25], v[68:69]
	v_add_f64 v[48:49], v[34:35], v[48:49]
	v_add_f64 v[52:53], v[40:41], v[52:53]
	v_fma_f64 v[50:51], v[38:39], s[24:25], v[50:51]
	v_fma_f64 v[54:55], v[32:33], s[24:25], v[54:55]
	;; [unrolled: 1-line block ×4, first 2 shown]
	v_add_f64 v[34:35], v[72:73], -v[64:65]
	v_add_f64 v[32:33], v[66:67], v[70:71]
	v_add_f64 v[38:39], v[52:53], -v[50:51]
	v_add_f64 v[36:37], v[54:55], v[48:49]
	v_add_f64 v[42:43], v[46:47], v[62:63]
	v_add_f64 v[40:41], v[44:45], -v[68:69]
	v_add_f64 v[44:45], v[68:69], v[44:45]
	v_add_f64 v[46:47], v[62:63], -v[46:47]
	v_add_f64 v[48:49], v[48:49], -v[54:55]
	v_add_f64 v[50:51], v[50:51], v[52:53]
	v_add_f64 v[52:53], v[70:71], -v[66:67]
	v_add_f64 v[54:55], v[64:65], v[72:73]
	ds_write_b128 v60, v[28:31]
	ds_write_b128 v60, v[32:35] offset:1728
	ds_write_b128 v60, v[36:39] offset:3456
	;; [unrolled: 1-line block ×6, first 2 shown]
	s_and_saveexec_b64 s[28:29], s[0:1]
	s_cbranch_execz .LBB0_17
; %bb.16:
	v_subrev_u32_e32 v28, 45, v58
	v_cndmask_b32_e64 v28, v28, v61, s[0:1]
	v_mul_i32_i24_e32 v28, 6, v28
	v_mov_b32_e32 v29, 0
	v_lshlrev_b64 v[28:29], 4, v[28:29]
	v_mov_b32_e32 v30, s9
	v_add_co_u32_e64 v52, s[0:1], s8, v28
	v_addc_co_u32_e64 v53, s[0:1], v30, v29, s[0:1]
	global_load_dwordx4 v[28:31], v[52:53], off offset:1744
	global_load_dwordx4 v[32:35], v[52:53], off offset:1728
	;; [unrolled: 1-line block ×6, first 2 shown]
	s_waitcnt vmcnt(5)
	v_mul_f64 v[52:53], v[18:19], v[30:31]
	s_waitcnt vmcnt(4)
	v_mul_f64 v[54:55], v[14:15], v[34:35]
	;; [unrolled: 2-line block ×6, first 2 shown]
	v_mul_f64 v[38:39], v[8:9], v[38:39]
	v_mul_f64 v[42:43], v[20:21], v[42:43]
	;; [unrolled: 1-line block ×6, first 2 shown]
	v_fma_f64 v[8:9], v[8:9], v[36:37], -v[61:62]
	v_fma_f64 v[20:21], v[20:21], v[40:41], -v[63:64]
	;; [unrolled: 1-line block ×4, first 2 shown]
	v_fma_f64 v[10:11], v[10:11], v[36:37], v[38:39]
	v_fma_f64 v[22:23], v[22:23], v[40:41], v[42:43]
	;; [unrolled: 1-line block ×4, first 2 shown]
	v_fma_f64 v[16:17], v[16:17], v[28:29], -v[52:53]
	v_fma_f64 v[12:13], v[12:13], v[32:33], -v[54:55]
	v_fma_f64 v[14:15], v[14:15], v[32:33], v[34:35]
	v_fma_f64 v[18:19], v[18:19], v[28:29], v[30:31]
	v_add_f64 v[30:31], v[8:9], -v[20:21]
	v_add_f64 v[32:33], v[4:5], -v[24:25]
	v_add_f64 v[36:37], v[10:11], v[22:23]
	v_add_f64 v[38:39], v[6:7], v[26:27]
	;; [unrolled: 1-line block ×4, first 2 shown]
	v_add_f64 v[28:29], v[16:17], -v[12:13]
	v_add_f64 v[34:35], v[14:15], v[18:19]
	v_add_f64 v[12:13], v[12:13], v[16:17]
	v_add_f64 v[14:15], v[18:19], -v[14:15]
	v_add_f64 v[10:11], v[10:11], -v[22:23]
	;; [unrolled: 1-line block ×3, first 2 shown]
	v_add_f64 v[26:27], v[36:37], v[38:39]
	v_add_f64 v[42:43], v[8:9], v[4:5]
	;; [unrolled: 1-line block ×3, first 2 shown]
	v_add_f64 v[18:19], v[28:29], -v[30:31]
	v_add_f64 v[20:21], v[32:33], -v[28:29]
	;; [unrolled: 1-line block ×6, first 2 shown]
	v_add_f64 v[26:27], v[34:35], v[26:27]
	v_add_f64 v[12:13], v[12:13], v[42:43]
	v_add_f64 v[30:31], v[30:31], -v[32:33]
	v_add_f64 v[4:5], v[8:9], -v[4:5]
	;; [unrolled: 1-line block ×4, first 2 shown]
	v_add_f64 v[44:45], v[14:15], v[10:11]
	v_add_f64 v[14:15], v[6:7], -v[14:15]
	v_add_f64 v[36:37], v[36:37], -v[38:39]
	v_add_f64 v[10:11], v[16:17], v[32:33]
	v_mul_f64 v[16:17], v[18:19], s[16:17]
	v_mul_f64 v[24:25], v[24:25], s[4:5]
	;; [unrolled: 1-line block ×4, first 2 shown]
	v_add_f64 v[2:3], v[2:3], v[26:27]
	v_add_f64 v[0:1], v[0:1], v[12:13]
	v_mul_f64 v[40:41], v[30:31], s[6:7]
	v_mul_f64 v[42:43], v[8:9], s[6:7]
	;; [unrolled: 1-line block ×4, first 2 shown]
	v_add_f64 v[6:7], v[44:45], v[6:7]
	v_fma_f64 v[44:45], v[20:21], s[22:23], v[16:17]
	v_fma_f64 v[22:23], v[22:23], s[10:11], v[24:25]
	;; [unrolled: 1-line block ×6, first 2 shown]
	v_fma_f64 v[20:21], v[20:21], s[26:27], -v[40:41]
	v_fma_f64 v[24:25], v[36:37], s[20:21], -v[24:25]
	;; [unrolled: 1-line block ×8, first 2 shown]
	v_fma_f64 v[30:31], v[10:11], s[24:25], v[44:45]
	v_fma_f64 v[32:33], v[6:7], s[24:25], v[46:47]
	v_add_f64 v[36:37], v[22:23], v[26:27]
	v_add_f64 v[28:29], v[28:29], v[12:13]
	v_fma_f64 v[20:21], v[10:11], s[24:25], v[20:21]
	v_add_f64 v[22:23], v[24:25], v[26:27]
	v_fma_f64 v[38:39], v[6:7], s[24:25], v[14:15]
	;; [unrolled: 2-line block ×4, first 2 shown]
	v_add_f64 v[4:5], v[4:5], v[12:13]
	v_add_f64 v[26:27], v[36:37], -v[30:31]
	v_add_f64 v[24:25], v[32:33], v[28:29]
	v_add_f64 v[10:11], v[20:21], v[22:23]
	v_add_f64 v[22:23], v[22:23], -v[20:21]
	v_add_f64 v[20:21], v[38:39], v[34:35]
	v_add_f64 v[14:15], v[18:19], -v[16:17]
	;; [unrolled: 2-line block ×5, first 2 shown]
	ds_write_b128 v60, v[0:3] offset:1008
	ds_write_b128 v60, v[24:27] offset:2736
	;; [unrolled: 1-line block ×7, first 2 shown]
.LBB0_17:
	s_or_b64 exec, exec, s[28:29]
	s_waitcnt lgkmcnt(0)
	; wave barrier
	s_waitcnt lgkmcnt(0)
	s_and_saveexec_b64 s[0:1], vcc
	s_cbranch_execz .LBB0_19
; %bb.18:
	v_mad_u64_u32 v[4:5], s[0:1], s2, v58, 0
	v_mad_u64_u32 v[8:9], s[0:1], s2, v59, 0
	;; [unrolled: 1-line block ×3, first 2 shown]
	ds_read_b128 v[0:3], v60
	v_mov_b32_e32 v6, s13
	v_add_co_u32_e32 v13, vcc, s12, v56
	v_addc_co_u32_e32 v14, vcc, v6, v57, vcc
	v_lshlrev_b64 v[4:5], 4, v[4:5]
	v_mov_b32_e32 v6, v9
	v_mad_u64_u32 v[9:10], s[0:1], s3, v59, v[6:7]
	v_add_co_u32_e32 v10, vcc, v13, v4
	v_addc_co_u32_e32 v11, vcc, v14, v5, vcc
	ds_read_b128 v[4:7], v60 offset:1008
	s_waitcnt lgkmcnt(1)
	global_store_dwordx4 v[10:11], v[0:3], off
	s_nop 0
	v_add_u32_e32 v2, 0x7e, v58
	v_lshlrev_b64 v[0:1], 4, v[8:9]
	v_mad_u64_u32 v[8:9], s[0:1], s2, v2, 0
	v_add_co_u32_e32 v0, vcc, v13, v0
	v_addc_co_u32_e32 v1, vcc, v14, v1, vcc
	s_waitcnt lgkmcnt(0)
	global_store_dwordx4 v[0:1], v[4:7], off
	v_mov_b32_e32 v0, v9
	v_add_u32_e32 v7, 0xbd, v58
	v_mad_u64_u32 v[0:1], s[0:1], s3, v2, v[0:1]
	v_mad_u64_u32 v[10:11], s[0:1], s2, v7, 0
	v_mov_b32_e32 v9, v0
	ds_read_b128 v[0:3], v60 offset:2016
	v_mov_b32_e32 v6, v11
	v_lshlrev_b64 v[4:5], 4, v[8:9]
	v_mad_u64_u32 v[8:9], s[0:1], s3, v7, v[6:7]
	v_add_co_u32_e32 v11, vcc, v13, v4
	v_addc_co_u32_e32 v12, vcc, v14, v5, vcc
	ds_read_b128 v[4:7], v60 offset:3024
	s_waitcnt lgkmcnt(1)
	global_store_dwordx4 v[11:12], v[0:3], off
	v_mov_b32_e32 v11, v8
	v_add_u32_e32 v2, 0xfc, v58
	v_lshlrev_b64 v[0:1], 4, v[10:11]
	v_mad_u64_u32 v[8:9], s[0:1], s2, v2, 0
	v_add_co_u32_e32 v0, vcc, v13, v0
	v_addc_co_u32_e32 v1, vcc, v14, v1, vcc
	s_waitcnt lgkmcnt(0)
	global_store_dwordx4 v[0:1], v[4:7], off
	v_mov_b32_e32 v0, v9
	v_add_u32_e32 v7, 0x13b, v58
	v_mad_u64_u32 v[0:1], s[0:1], s3, v2, v[0:1]
	v_mad_u64_u32 v[10:11], s[0:1], s2, v7, 0
	v_mov_b32_e32 v9, v0
	ds_read_b128 v[0:3], v60 offset:4032
	v_mov_b32_e32 v6, v11
	v_lshlrev_b64 v[4:5], 4, v[8:9]
	v_mad_u64_u32 v[8:9], s[0:1], s3, v7, v[6:7]
	v_add_co_u32_e32 v11, vcc, v13, v4
	v_addc_co_u32_e32 v12, vcc, v14, v5, vcc
	ds_read_b128 v[4:7], v60 offset:5040
	s_waitcnt lgkmcnt(1)
	global_store_dwordx4 v[11:12], v[0:3], off
	v_mov_b32_e32 v11, v8
	;; [unrolled: 22-line block ×5, first 2 shown]
	v_lshlrev_b64 v[0:1], 4, v[10:11]
	v_add_co_u32_e32 v0, vcc, v13, v0
	v_addc_co_u32_e32 v1, vcc, v14, v1, vcc
	s_waitcnt lgkmcnt(0)
	global_store_dwordx4 v[0:1], v[4:7], off
.LBB0_19:
	s_endpgm
	.section	.rodata,"a",@progbits
	.p2align	6, 0x0
	.amdhsa_kernel fft_rtc_fwd_len756_factors_2_2_3_3_3_7_wgs_63_tpt_63_dp_ip_CI_sbrr_dirReg
		.amdhsa_group_segment_fixed_size 0
		.amdhsa_private_segment_fixed_size 0
		.amdhsa_kernarg_size 88
		.amdhsa_user_sgpr_count 6
		.amdhsa_user_sgpr_private_segment_buffer 1
		.amdhsa_user_sgpr_dispatch_ptr 0
		.amdhsa_user_sgpr_queue_ptr 0
		.amdhsa_user_sgpr_kernarg_segment_ptr 1
		.amdhsa_user_sgpr_dispatch_id 0
		.amdhsa_user_sgpr_flat_scratch_init 0
		.amdhsa_user_sgpr_private_segment_size 0
		.amdhsa_uses_dynamic_stack 0
		.amdhsa_system_sgpr_private_segment_wavefront_offset 0
		.amdhsa_system_sgpr_workgroup_id_x 1
		.amdhsa_system_sgpr_workgroup_id_y 0
		.amdhsa_system_sgpr_workgroup_id_z 0
		.amdhsa_system_sgpr_workgroup_info 0
		.amdhsa_system_vgpr_workitem_id 0
		.amdhsa_next_free_vgpr 85
		.amdhsa_next_free_sgpr 30
		.amdhsa_reserve_vcc 1
		.amdhsa_reserve_flat_scratch 0
		.amdhsa_float_round_mode_32 0
		.amdhsa_float_round_mode_16_64 0
		.amdhsa_float_denorm_mode_32 3
		.amdhsa_float_denorm_mode_16_64 3
		.amdhsa_dx10_clamp 1
		.amdhsa_ieee_mode 1
		.amdhsa_fp16_overflow 0
		.amdhsa_exception_fp_ieee_invalid_op 0
		.amdhsa_exception_fp_denorm_src 0
		.amdhsa_exception_fp_ieee_div_zero 0
		.amdhsa_exception_fp_ieee_overflow 0
		.amdhsa_exception_fp_ieee_underflow 0
		.amdhsa_exception_fp_ieee_inexact 0
		.amdhsa_exception_int_div_zero 0
	.end_amdhsa_kernel
	.text
.Lfunc_end0:
	.size	fft_rtc_fwd_len756_factors_2_2_3_3_3_7_wgs_63_tpt_63_dp_ip_CI_sbrr_dirReg, .Lfunc_end0-fft_rtc_fwd_len756_factors_2_2_3_3_3_7_wgs_63_tpt_63_dp_ip_CI_sbrr_dirReg
                                        ; -- End function
	.section	.AMDGPU.csdata,"",@progbits
; Kernel info:
; codeLenInByte = 10148
; NumSgprs: 34
; NumVgprs: 85
; ScratchSize: 0
; MemoryBound: 0
; FloatMode: 240
; IeeeMode: 1
; LDSByteSize: 0 bytes/workgroup (compile time only)
; SGPRBlocks: 4
; VGPRBlocks: 21
; NumSGPRsForWavesPerEU: 34
; NumVGPRsForWavesPerEU: 85
; Occupancy: 2
; WaveLimiterHint : 1
; COMPUTE_PGM_RSRC2:SCRATCH_EN: 0
; COMPUTE_PGM_RSRC2:USER_SGPR: 6
; COMPUTE_PGM_RSRC2:TRAP_HANDLER: 0
; COMPUTE_PGM_RSRC2:TGID_X_EN: 1
; COMPUTE_PGM_RSRC2:TGID_Y_EN: 0
; COMPUTE_PGM_RSRC2:TGID_Z_EN: 0
; COMPUTE_PGM_RSRC2:TIDIG_COMP_CNT: 0
	.type	__hip_cuid_6d14853b72a799ea,@object ; @__hip_cuid_6d14853b72a799ea
	.section	.bss,"aw",@nobits
	.globl	__hip_cuid_6d14853b72a799ea
__hip_cuid_6d14853b72a799ea:
	.byte	0                               ; 0x0
	.size	__hip_cuid_6d14853b72a799ea, 1

	.ident	"AMD clang version 19.0.0git (https://github.com/RadeonOpenCompute/llvm-project roc-6.4.0 25133 c7fe45cf4b819c5991fe208aaa96edf142730f1d)"
	.section	".note.GNU-stack","",@progbits
	.addrsig
	.addrsig_sym __hip_cuid_6d14853b72a799ea
	.amdgpu_metadata
---
amdhsa.kernels:
  - .args:
      - .actual_access:  read_only
        .address_space:  global
        .offset:         0
        .size:           8
        .value_kind:     global_buffer
      - .offset:         8
        .size:           8
        .value_kind:     by_value
      - .actual_access:  read_only
        .address_space:  global
        .offset:         16
        .size:           8
        .value_kind:     global_buffer
      - .actual_access:  read_only
        .address_space:  global
        .offset:         24
        .size:           8
        .value_kind:     global_buffer
      - .offset:         32
        .size:           8
        .value_kind:     by_value
      - .actual_access:  read_only
        .address_space:  global
        .offset:         40
        .size:           8
        .value_kind:     global_buffer
      - .actual_access:  read_only
        .address_space:  global
        .offset:         48
        .size:           8
        .value_kind:     global_buffer
      - .offset:         56
        .size:           4
        .value_kind:     by_value
      - .actual_access:  read_only
        .address_space:  global
        .offset:         64
        .size:           8
        .value_kind:     global_buffer
      - .actual_access:  read_only
        .address_space:  global
        .offset:         72
        .size:           8
        .value_kind:     global_buffer
      - .address_space:  global
        .offset:         80
        .size:           8
        .value_kind:     global_buffer
    .group_segment_fixed_size: 0
    .kernarg_segment_align: 8
    .kernarg_segment_size: 88
    .language:       OpenCL C
    .language_version:
      - 2
      - 0
    .max_flat_workgroup_size: 63
    .name:           fft_rtc_fwd_len756_factors_2_2_3_3_3_7_wgs_63_tpt_63_dp_ip_CI_sbrr_dirReg
    .private_segment_fixed_size: 0
    .sgpr_count:     34
    .sgpr_spill_count: 0
    .symbol:         fft_rtc_fwd_len756_factors_2_2_3_3_3_7_wgs_63_tpt_63_dp_ip_CI_sbrr_dirReg.kd
    .uniform_work_group_size: 1
    .uses_dynamic_stack: false
    .vgpr_count:     85
    .vgpr_spill_count: 0
    .wavefront_size: 64
amdhsa.target:   amdgcn-amd-amdhsa--gfx906
amdhsa.version:
  - 1
  - 2
...

	.end_amdgpu_metadata
